;; amdgpu-corpus repo=zjin-lcf/HeCBench kind=compiled arch=gfx950 opt=O3
	.amdgcn_target "amdgcn-amd-amdhsa--gfx950"
	.amdhsa_code_object_version 6
	.section	.text._Z13surfel_renderIfEvPKT_iS0_iiPS0_,"axG",@progbits,_Z13surfel_renderIfEvPKT_iS0_iiPS0_,comdat
	.protected	_Z13surfel_renderIfEvPKT_iS0_iiPS0_ ; -- Begin function _Z13surfel_renderIfEvPKT_iS0_iiPS0_
	.globl	_Z13surfel_renderIfEvPKT_iS0_iiPS0_
	.p2align	8
	.type	_Z13surfel_renderIfEvPKT_iS0_iiPS0_,@function
_Z13surfel_renderIfEvPKT_iS0_iiPS0_:    ; @_Z13surfel_renderIfEvPKT_iS0_iiPS0_
; %bb.0:
	s_load_dword s8, s[0:1], 0x2c
	s_load_dwordx4 s[4:7], s[0:1], 0x8
	v_and_b32_e32 v1, 0x3ff, v0
	v_bfe_u32 v0, v0, 10, 10
	s_waitcnt lgkmcnt(0)
	s_lshr_b32 s9, s8, 16
	s_and_b32 s8, s8, 0xffff
	s_mul_i32 s2, s2, s8
	s_mul_i32 s3, s3, s9
	v_add_u32_e32 v2, s2, v1
	v_add_u32_e32 v3, s3, v0
	v_cmp_gt_i32_e32 vcc, s6, v2
	v_cmp_gt_i32_e64 s[2:3], s7, v3
	s_and_b64 s[2:3], vcc, s[2:3]
	s_and_saveexec_b64 s[8:9], s[2:3]
	s_cbranch_execz .LBB0_6
; %bb.1:
	s_load_dwordx2 s[2:3], s[0:1], 0x18
	s_cmp_lt_i32 s4, 1
	s_cbranch_scc1 .LBB0_4
; %bb.2:
	s_add_i32 s8, s6, -1
	s_load_dwordx2 s[0:1], s[0:1], 0x0
	v_cvt_f32_i32_e32 v1, v2
	v_cvt_f32_i32_e32 v0, s8
	s_add_i32 s7, s7, -1
	v_cvt_f32_i32_e32 v5, v3
	v_cvt_f32_i32_e32 v4, s7
	v_fmac_f32_e32 v1, -0.5, v0
	s_waitcnt lgkmcnt(0)
	s_add_u32 s8, s0, 12
	v_mov_b32_e32 v6, s5
	v_fmac_f32_e32 v5, -0.5, v4
	v_mov_b32_e32 v7, v1
	s_addc_u32 s9, s1, 0
	v_mov_b32_e32 v8, 0x60ad78ec
.LBB0_3:                                ; =>This Inner Loop Header: Depth=1
	s_add_u32 s0, s8, -12
	s_addc_u32 s1, s9, -1
	s_load_dword s7, s[8:9], 0xc
	s_load_dwordx4 s[12:15], s[0:1], 0x0
	s_load_dwordx2 s[10:11], s[8:9], 0x4
	s_add_i32 s4, s4, -1
	s_waitcnt lgkmcnt(0)
	v_mov_b32_e32 v4, s13
	v_mov_b32_e32 v0, s12
	s_mov_b32 s0, s15
	v_pk_mul_f32 v[12:13], v[4:5], s[10:11] op_sel_hi:[1,0]
	s_mov_b32 s15, s5
	v_mov_b64_e32 v[10:11], s[10:11]
	v_pk_fma_f32 v[12:13], v[0:1], s[0:1], v[12:13] op_sel_hi:[1,0,1]
	s_nop 0
	v_pk_fma_f32 v[10:11], s[14:15], v[10:11], v[12:13] op_sel:[0,1,0]
	s_mov_b32 s15, s12
	v_div_scale_f32 v0, s[0:1], v11, v11, v10
	v_rcp_f32_e32 v9, v0
	v_div_scale_f32 v4, vcc, v10, v11, v10
	v_fma_f32 v12, -v0, v9, 1.0
	v_fmac_f32_e32 v9, v12, v9
	v_mul_f32_e32 v12, v4, v9
	v_fma_f32 v13, -v0, v12, v4
	v_fmac_f32_e32 v12, v13, v9
	v_fma_f32 v0, -v0, v12, v4
	v_div_fmas_f32 v0, v0, v9, v12
	v_div_fixup_f32 v0, v0, v11, v10
	v_pk_fma_f32 v[12:13], v[6:7], v[0:1], s[14:15] op_sel_hi:[1,0,1] neg_lo:[0,0,1] neg_hi:[0,0,1]
	v_fma_f32 v4, v5, v0, -s13
	v_pk_mul_f32 v[12:13], v[12:13], v[12:13]
	v_pk_mul_f32 v[10:11], v[6:7], v[0:1] op_sel_hi:[1,0]
	v_fma_f32 v0, v4, v4, v13
	v_add_f32_e32 v0, v12, v0
	v_cmp_gt_f32_e32 vcc, v8, v10
	v_cmp_gt_f32_e64 s[0:1], s7, v0
	s_and_b64 vcc, s[0:1], vcc
	s_add_u32 s8, s8, 28
	s_addc_u32 s9, s9, 0
	s_cmp_eq_u32 s4, 0
	v_cndmask_b32_e32 v8, v8, v10, vcc
	s_cbranch_scc0 .LBB0_3
	s_branch .LBB0_5
.LBB0_4:
	v_mov_b32_e32 v8, 0x60ad78ec
.LBB0_5:
	s_mov_b32 s0, 0x42c80000
	v_cmp_nlt_f32_e32 vcc, s0, v8
	v_mad_u64_u32 v[0:1], s[0:1], v3, s6, v[2:3]
	v_ashrrev_i32_e32 v1, 31, v0
	v_cndmask_b32_e32 v4, 0, v8, vcc
	s_waitcnt lgkmcnt(0)
	v_lshl_add_u64 v[0:1], v[0:1], 2, s[2:3]
	global_store_dword v[0:1], v4, off
.LBB0_6:
	s_endpgm
	.section	.rodata,"a",@progbits
	.p2align	6, 0x0
	.amdhsa_kernel _Z13surfel_renderIfEvPKT_iS0_iiPS0_
		.amdhsa_group_segment_fixed_size 0
		.amdhsa_private_segment_fixed_size 0
		.amdhsa_kernarg_size 288
		.amdhsa_user_sgpr_count 2
		.amdhsa_user_sgpr_dispatch_ptr 0
		.amdhsa_user_sgpr_queue_ptr 0
		.amdhsa_user_sgpr_kernarg_segment_ptr 1
		.amdhsa_user_sgpr_dispatch_id 0
		.amdhsa_user_sgpr_kernarg_preload_length 0
		.amdhsa_user_sgpr_kernarg_preload_offset 0
		.amdhsa_user_sgpr_private_segment_size 0
		.amdhsa_uses_dynamic_stack 0
		.amdhsa_enable_private_segment 0
		.amdhsa_system_sgpr_workgroup_id_x 1
		.amdhsa_system_sgpr_workgroup_id_y 1
		.amdhsa_system_sgpr_workgroup_id_z 0
		.amdhsa_system_sgpr_workgroup_info 0
		.amdhsa_system_vgpr_workitem_id 1
		.amdhsa_next_free_vgpr 14
		.amdhsa_next_free_sgpr 16
		.amdhsa_accum_offset 16
		.amdhsa_reserve_vcc 1
		.amdhsa_float_round_mode_32 0
		.amdhsa_float_round_mode_16_64 0
		.amdhsa_float_denorm_mode_32 3
		.amdhsa_float_denorm_mode_16_64 3
		.amdhsa_dx10_clamp 1
		.amdhsa_ieee_mode 1
		.amdhsa_fp16_overflow 0
		.amdhsa_tg_split 0
		.amdhsa_exception_fp_ieee_invalid_op 0
		.amdhsa_exception_fp_denorm_src 0
		.amdhsa_exception_fp_ieee_div_zero 0
		.amdhsa_exception_fp_ieee_overflow 0
		.amdhsa_exception_fp_ieee_underflow 0
		.amdhsa_exception_fp_ieee_inexact 0
		.amdhsa_exception_int_div_zero 0
	.end_amdhsa_kernel
	.section	.text._Z13surfel_renderIfEvPKT_iS0_iiPS0_,"axG",@progbits,_Z13surfel_renderIfEvPKT_iS0_iiPS0_,comdat
.Lfunc_end0:
	.size	_Z13surfel_renderIfEvPKT_iS0_iiPS0_, .Lfunc_end0-_Z13surfel_renderIfEvPKT_iS0_iiPS0_
                                        ; -- End function
	.set _Z13surfel_renderIfEvPKT_iS0_iiPS0_.num_vgpr, 14
	.set _Z13surfel_renderIfEvPKT_iS0_iiPS0_.num_agpr, 0
	.set _Z13surfel_renderIfEvPKT_iS0_iiPS0_.numbered_sgpr, 16
	.set _Z13surfel_renderIfEvPKT_iS0_iiPS0_.num_named_barrier, 0
	.set _Z13surfel_renderIfEvPKT_iS0_iiPS0_.private_seg_size, 0
	.set _Z13surfel_renderIfEvPKT_iS0_iiPS0_.uses_vcc, 1
	.set _Z13surfel_renderIfEvPKT_iS0_iiPS0_.uses_flat_scratch, 0
	.set _Z13surfel_renderIfEvPKT_iS0_iiPS0_.has_dyn_sized_stack, 0
	.set _Z13surfel_renderIfEvPKT_iS0_iiPS0_.has_recursion, 0
	.set _Z13surfel_renderIfEvPKT_iS0_iiPS0_.has_indirect_call, 0
	.section	.AMDGPU.csdata,"",@progbits
; Kernel info:
; codeLenInByte = 480
; TotalNumSgprs: 22
; NumVgprs: 14
; NumAgprs: 0
; TotalNumVgprs: 14
; ScratchSize: 0
; MemoryBound: 0
; FloatMode: 240
; IeeeMode: 1
; LDSByteSize: 0 bytes/workgroup (compile time only)
; SGPRBlocks: 2
; VGPRBlocks: 1
; NumSGPRsForWavesPerEU: 22
; NumVGPRsForWavesPerEU: 14
; AccumOffset: 16
; Occupancy: 8
; WaveLimiterHint : 0
; COMPUTE_PGM_RSRC2:SCRATCH_EN: 0
; COMPUTE_PGM_RSRC2:USER_SGPR: 2
; COMPUTE_PGM_RSRC2:TRAP_HANDLER: 0
; COMPUTE_PGM_RSRC2:TGID_X_EN: 1
; COMPUTE_PGM_RSRC2:TGID_Y_EN: 1
; COMPUTE_PGM_RSRC2:TGID_Z_EN: 0
; COMPUTE_PGM_RSRC2:TIDIG_COMP_CNT: 1
; COMPUTE_PGM_RSRC3_GFX90A:ACCUM_OFFSET: 3
; COMPUTE_PGM_RSRC3_GFX90A:TG_SPLIT: 0
	.section	.text._Z18surfel_render_tileIfLi256EEvPKT_iS0_iiPS0_,"axG",@progbits,_Z18surfel_render_tileIfLi256EEvPKT_iS0_iiPS0_,comdat
	.protected	_Z18surfel_render_tileIfLi256EEvPKT_iS0_iiPS0_ ; -- Begin function _Z18surfel_render_tileIfLi256EEvPKT_iS0_iiPS0_
	.globl	_Z18surfel_render_tileIfLi256EEvPKT_iS0_iiPS0_
	.p2align	8
	.type	_Z18surfel_render_tileIfLi256EEvPKT_iS0_iiPS0_,@function
_Z18surfel_render_tileIfLi256EEvPKT_iS0_iiPS0_: ; @_Z18surfel_render_tileIfLi256EEvPKT_iS0_iiPS0_
; %bb.0:
	s_load_dword s4, s[0:1], 0x2c
	s_load_dwordx4 s[8:11], s[0:1], 0x8
	v_and_b32_e32 v4, 0x3ff, v0
	v_bfe_u32 v0, v0, 10, 10
	s_waitcnt lgkmcnt(0)
	s_lshr_b32 s5, s4, 16
	s_and_b32 s4, s4, 0xffff
	s_mul_i32 s2, s2, s4
	s_mul_i32 s3, s3, s5
	v_add_u32_e32 v2, s2, v4
	v_add_u32_e32 v3, s3, v0
	v_cmp_gt_i32_e32 vcc, s10, v2
	v_cmp_gt_i32_e64 s[2:3], s11, v3
	s_and_b64 s[2:3], vcc, s[2:3]
	s_and_saveexec_b64 s[6:7], s[2:3]
	s_cbranch_execz .LBB1_15
; %bb.1:
	s_load_dwordx2 s[12:13], s[0:1], 0x18
	s_cmp_lt_i32 s8, 1
	s_cbranch_scc1 .LBB1_13
; %bb.2:
	s_add_i32 s2, s10, -1
	v_cvt_f32_i32_e32 v1, v2
	v_cvt_f32_i32_e32 v6, s2
	s_add_i32 s2, s11, -1
	v_cvt_f32_i32_e32 v5, v3
	v_cvt_f32_i32_e32 v7, s2
	s_load_dwordx2 s[14:15], s[0:1], 0x0
	v_fmac_f32_e32 v1, -0.5, v6
	v_mad_u32_u24 v10, v0, s4, v4
	s_movk_i32 s0, 0x100
	v_fmac_f32_e32 v5, -0.5, v7
	v_cmp_gt_u32_e64 s[0:1], s0, v10
	v_mul_lo_u32 v11, v10, 28
	v_mov_b32_e32 v6, s9
	v_mov_b32_e32 v7, v1
	s_mov_b32 s11, 0
	v_mov_b32_e32 v13, 0x60ad78ec
	v_mov_b32_e32 v9, 0
	;; [unrolled: 1-line block ×3, first 2 shown]
	s_mov_b32 s16, s8
	s_branch .LBB1_4
.LBB1_3:                                ;   in Loop: Header=BB1_4 Depth=1
	s_addk_i32 s11, 0x100
	s_addk_i32 s16, 0xff00
	s_cmp_ge_i32 s11, s8
	s_cbranch_scc1 .LBB1_14
.LBB1_4:                                ; =>This Loop Header: Depth=1
                                        ;     Child Loop BB1_9 Depth 2
                                        ;     Child Loop BB1_12 Depth 2
	v_or_b32_e32 v0, s11, v10
	v_cmp_gt_i32_e32 vcc, s8, v0
	s_and_b64 s[4:5], s[0:1], vcc
	s_and_saveexec_b64 s[2:3], s[4:5]
	s_cbranch_execz .LBB1_6
; %bb.5:                                ;   in Loop: Header=BB1_4 Depth=1
	v_mul_lo_u32 v8, v0, 7
	s_waitcnt lgkmcnt(0)
	v_lshl_add_u64 v[22:23], v[8:9], 2, s[14:15]
	global_load_dwordx4 v[14:17], v[22:23], off
	global_load_dwordx3 v[18:20], v[22:23], off offset:16
	s_waitcnt vmcnt(1)
	ds_write2_b32 v11, v14, v15 offset1:1
	ds_write2_b32 v11, v16, v17 offset0:2 offset1:3
	s_waitcnt vmcnt(0)
	ds_write2_b32 v11, v18, v19 offset0:4 offset1:5
	ds_write_b32 v11, v20 offset:24
.LBB1_6:                                ;   in Loop: Header=BB1_4 Depth=1
	s_or_b64 exec, exec, s[2:3]
	s_cmp_le_i32 s8, s11
	s_waitcnt lgkmcnt(0)
	s_barrier
	s_cbranch_scc1 .LBB1_3
; %bb.7:                                ;   in Loop: Header=BB1_4 Depth=1
	v_med3_i32 v0, s16, 1, v12
	s_cmp_lt_i32 s16, 4
	v_readfirstlane_b32 s18, v0
	s_mov_b32 s17, 0
	s_cbranch_scc1 .LBB1_10
; %bb.8:                                ;   in Loop: Header=BB1_4 Depth=1
	s_and_b32 s17, s18, -4
	s_mov_b32 s19, 0
	s_mov_b32 s20, 0
.LBB1_9:                                ;   Parent Loop BB1_4 Depth=1
                                        ; =>  This Inner Loop Header: Depth=2
	v_mov_b32_e32 v0, s19
	ds_read_b128 v[14:17], v0
	ds_read_b96 v[30:32], v0 offset:16
	ds_read_b32 v33, v0 offset:52
	ds_read2_b32 v[34:35], v0 offset0:9 offset1:10
	ds_read2_b32 v[36:37], v0 offset0:11 offset1:12
	;; [unrolled: 1-line block ×3, first 2 shown]
	ds_read2_b64 v[18:21], v0 offset0:7 offset1:8
	ds_read_b64 v[40:41], v0 offset:72
	ds_read_b128 v[22:25], v0 offset:80
	ds_read_b128 v[26:29], v0 offset:96
	s_waitcnt lgkmcnt(9)
	v_mov_b32_e32 v4, v15
	v_mov_b32_e32 v0, v14
	;; [unrolled: 1-line block ×3, first 2 shown]
	s_waitcnt lgkmcnt(8)
	v_pk_mul_f32 v[44:45], v[4:5], v[30:31] op_sel_hi:[1,0]
	v_mov_b32_e32 v17, s9
	s_waitcnt lgkmcnt(4)
	v_mov_b32_e32 v4, v39
	v_pk_fma_f32 v[44:45], v[0:1], v[8:9], v[44:45] op_sel_hi:[1,0,1]
	v_mov_b32_e32 v0, v38
	v_pk_mul_f32 v[46:47], v[4:5], v[36:37] op_sel_hi:[1,0]
	s_waitcnt lgkmcnt(3)
	v_mov_b32_e32 v4, v19
	v_pk_fma_f32 v[30:31], v[16:17], v[30:31], v[44:45] op_sel:[0,1,0]
	v_mov_b32_e32 v43, v14
	v_mov_b32_e32 v14, v21
	v_pk_fma_f32 v[44:45], v[0:1], v[34:35], v[46:47] op_sel:[0,1,0]
	v_mov_b32_e32 v35, s9
	v_mov_b32_e32 v0, v18
	s_waitcnt lgkmcnt(2)
	v_pk_mul_f32 v[46:47], v[4:5], v[40:41] op_sel_hi:[1,0]
	s_waitcnt lgkmcnt(1)
	v_mov_b32_e32 v4, v24
	v_div_scale_f32 v8, s[2:3], v31, v31, v30
	v_mov_b32_e32 v21, s9
	v_pk_fma_f32 v[36:37], v[34:35], v[36:37], v[44:45] op_sel:[0,1,0]
	v_pk_fma_f32 v[44:45], v[0:1], v[14:15], v[46:47] op_sel_hi:[1,0,1]
	v_mov_b32_e32 v0, v23
	s_waitcnt lgkmcnt(0)
	v_pk_mul_f32 v[46:47], v[4:5], v[26:27] op_sel:[0,1]
	v_rcp_f32_e32 v4, v8
	v_mov_b32_e32 v42, v16
	v_mov_b32_e32 v16, v25
	v_div_scale_f32 v14, s[2:3], v37, v37, v36
	v_pk_fma_f32 v[40:41], v[20:21], v[40:41], v[44:45] op_sel:[0,1,0]
	v_pk_fma_f32 v[26:27], v[0:1], v[26:27], v[46:47] op_sel_hi:[1,0,1]
	v_mov_b32_e32 v21, v18
	v_rcp_f32_e32 v18, v14
	v_div_scale_f32 v44, s[4:5], v41, v41, v40
	v_pk_fma_f32 v[16:17], v[16:17], v[28:29], v[26:27] op_sel_hi:[1,0,1]
	v_rcp_f32_e32 v28, v44
	v_div_scale_f32 v46, s[6:7], v17, v17, v16
	v_rcp_f32_e32 v49, v46
	v_fma_f32 v0, -v8, v4, 1.0
	v_div_scale_f32 v48, vcc, v30, v31, v30
	v_fmac_f32_e32 v4, v0, v4
	v_fma_f32 v0, -v14, v18, 1.0
	v_mul_f32_e32 v26, v48, v4
	v_mov_b32_e32 v35, v38
	v_div_scale_f32 v38, s[2:3], v36, v37, v36
	v_fmac_f32_e32 v18, v0, v18
	v_fma_f32 v0, -v44, v28, 1.0
	v_fma_f32 v27, -v8, v26, v48
	v_div_scale_f32 v45, s[4:5], v40, v41, v40
	v_mul_f32_e32 v50, v38, v18
	v_fmac_f32_e32 v28, v0, v28
	v_fma_f32 v0, -v46, v49, 1.0
	v_fmac_f32_e32 v26, v27, v4
	v_div_scale_f32 v47, s[6:7], v16, v17, v16
	v_fma_f32 v27, -v14, v50, v38
	v_mul_f32_e32 v51, v45, v28
	v_fmac_f32_e32 v49, v0, v49
	v_fma_f32 v0, -v8, v26, v48
	v_fmac_f32_e32 v50, v27, v18
	v_fma_f32 v8, -v44, v51, v45
	v_mul_f32_e32 v48, v47, v49
	v_div_fmas_f32 v0, v0, v4, v26
	v_fma_f32 v4, -v14, v50, v38
	v_fmac_f32_e32 v51, v8, v28
	v_fma_f32 v8, -v46, v48, v47
	v_div_fixup_f32 v0, v0, v31, v30
	s_mov_b64 vcc, s[2:3]
	v_div_fmas_f32 v4, v4, v18, v50
	v_fma_f32 v18, -v44, v51, v45
	v_fmac_f32_e32 v48, v8, v49
	v_fma_f32 v8, v5, v0, -v15
	v_pk_mul_f32 v[14:15], v[6:7], v[0:1] op_sel_hi:[1,0]
	v_pk_fma_f32 v[26:27], v[6:7], v[0:1], v[42:43] op_sel_hi:[1,0,1] neg_lo:[0,0,1] neg_hi:[0,0,1]
	s_mov_b64 vcc, s[4:5]
	v_div_fixup_f32 v0, v4, v37, v36
	v_div_fmas_f32 v4, v18, v28, v51
	v_fma_f32 v15, -v46, v48, v47
	v_pk_mul_f32 v[26:27], v[26:27], v[26:27]
	s_mov_b64 vcc, s[6:7]
	v_fma_f32 v28, v5, v0, -v39
	v_pk_mul_f32 v[30:31], v[6:7], v[0:1] op_sel_hi:[1,0]
	v_pk_fma_f32 v[34:35], v[6:7], v[0:1], v[34:35] op_sel_hi:[1,0,1] neg_lo:[0,0,1] neg_hi:[0,0,1]
	v_div_fixup_f32 v0, v4, v41, v40
	v_div_fmas_f32 v4, v15, v49, v48
	v_fma_f32 v8, v8, v8, v27
	v_fma_f32 v15, v5, v0, -v19
	v_pk_mul_f32 v[18:19], v[6:7], v[0:1] op_sel_hi:[1,0]
	v_pk_fma_f32 v[20:21], v[6:7], v[0:1], v[20:21] op_sel_hi:[1,0,1] neg_lo:[0,0,1] neg_hi:[0,0,1]
	v_div_fixup_f32 v0, v4, v17, v16
	v_add_f32_e32 v4, v26, v8
	v_cmp_lt_f32_e64 s[2:3], v14, v13
	v_pk_mul_f32 v[34:35], v[34:35], v[34:35]
	v_cmp_lt_f32_e32 vcc, v4, v32
	v_fma_f32 v8, v28, v28, v35
	s_and_b64 vcc, vcc, s[2:3]
	v_pk_mul_f32 v[16:17], v[20:21], v[20:21]
	v_add_f32_e32 v4, v34, v8
	v_cndmask_b32_e32 v13, v13, v14, vcc
	v_fma_f32 v8, v15, v15, v17
	v_cmp_lt_f32_e32 vcc, v4, v33
	v_cmp_lt_f32_e64 s[2:3], v30, v13
	v_add_f32_e32 v4, v16, v8
	s_and_b64 vcc, vcc, s[2:3]
	v_cmp_lt_f32_e64 s[4:5], v4, v22
	v_mov_b32_e32 v22, v25
	v_cndmask_b32_e32 v4, v13, v30, vcc
	v_pk_fma_f32 v[14:15], v[6:7], v[0:1], v[22:23] op_sel_hi:[1,0,1] neg_lo:[0,0,1] neg_hi:[0,0,1]
	v_cmp_lt_f32_e32 vcc, v18, v4
	v_fma_f32 v19, v5, v0, -v24
	v_pk_mul_f32 v[14:15], v[14:15], v[14:15]
	s_and_b64 vcc, s[4:5], vcc
	v_pk_mul_f32 v[20:21], v[6:7], v[0:1] op_sel_hi:[1,0]
	v_cndmask_b32_e32 v0, v4, v18, vcc
	v_fma_f32 v4, v19, v19, v15
	v_add_f32_e32 v4, v14, v4
	v_cmp_lt_f32_e32 vcc, v20, v0
	v_cmp_lt_f32_e64 s[2:3], v4, v29
	s_add_i32 s20, s20, 4
	s_addk_i32 s19, 0x70
	s_and_b64 vcc, s[2:3], vcc
	s_cmp_eq_u32 s17, s20
	v_cndmask_b32_e32 v13, v0, v20, vcc
	s_cbranch_scc0 .LBB1_9
.LBB1_10:                               ;   in Loop: Header=BB1_4 Depth=1
	s_and_b32 s4, s18, 3
	s_cmp_eq_u32 s4, 0
	s_cbranch_scc1 .LBB1_3
; %bb.11:                               ;   in Loop: Header=BB1_4 Depth=1
	s_mul_i32 s5, s17, 28
.LBB1_12:                               ;   Parent Loop BB1_4 Depth=1
                                        ; =>  This Inner Loop Header: Depth=2
	v_mov_b32_e32 v0, s5
	ds_read2_b32 v[14:15], v0 offset0:4 offset1:5
	ds_read_b32 v8, v0 offset:24
	ds_read2_b32 v[16:17], v0 offset1:1
	ds_read2_b32 v[18:19], v0 offset0:2 offset1:3
	s_add_i32 s5, s5, 28
	s_add_i32 s4, s4, -1
	s_waitcnt lgkmcnt(1)
	v_mov_b32_e32 v4, v17
	v_mov_b32_e32 v0, v16
	v_pk_mul_f32 v[20:21], v[4:5], v[14:15] op_sel_hi:[1,0]
	s_waitcnt lgkmcnt(0)
	v_pk_fma_f32 v[20:21], v[0:1], v[18:19], v[20:21] op_sel:[0,1,0]
	v_mov_b32_e32 v19, s9
	v_pk_fma_f32 v[14:15], v[18:19], v[14:15], v[20:21] op_sel:[0,1,0]
	v_mov_b32_e32 v19, v16
	v_div_scale_f32 v0, s[2:3], v15, v15, v14
	v_rcp_f32_e32 v16, v0
	v_div_scale_f32 v4, vcc, v14, v15, v14
	v_fma_f32 v20, -v0, v16, 1.0
	v_fmac_f32_e32 v16, v20, v16
	v_mul_f32_e32 v20, v4, v16
	v_fma_f32 v21, -v0, v20, v4
	v_fmac_f32_e32 v20, v21, v16
	v_fma_f32 v0, -v0, v20, v4
	v_div_fmas_f32 v0, v0, v16, v20
	v_div_fixup_f32 v0, v0, v15, v14
	v_fma_f32 v4, v5, v0, -v17
	v_pk_fma_f32 v[16:17], v[6:7], v[0:1], v[18:19] op_sel_hi:[1,0,1] neg_lo:[0,0,1] neg_hi:[0,0,1]
	v_pk_mul_f32 v[14:15], v[6:7], v[0:1] op_sel_hi:[1,0]
	v_pk_mul_f32 v[16:17], v[16:17], v[16:17]
	v_cmp_lt_f32_e32 vcc, v14, v13
	v_fma_f32 v0, v4, v4, v17
	v_add_f32_e32 v0, v16, v0
	v_cmp_lt_f32_e64 s[2:3], v0, v8
	s_and_b64 vcc, s[2:3], vcc
	s_cmp_lg_u32 s4, 0
	v_cndmask_b32_e32 v13, v13, v14, vcc
	s_cbranch_scc1 .LBB1_12
	s_branch .LBB1_3
.LBB1_13:
	v_mov_b32_e32 v13, 0x60ad78ec
.LBB1_14:
	s_mov_b32 s0, 0x42c80000
	v_cmp_nlt_f32_e32 vcc, s0, v13
	v_mad_u64_u32 v[0:1], s[0:1], v3, s10, v[2:3]
	v_ashrrev_i32_e32 v1, 31, v0
	v_cndmask_b32_e32 v4, 0, v13, vcc
	s_waitcnt lgkmcnt(0)
	v_lshl_add_u64 v[0:1], v[0:1], 2, s[12:13]
	global_store_dword v[0:1], v4, off
.LBB1_15:
	s_endpgm
	.section	.rodata,"a",@progbits
	.p2align	6, 0x0
	.amdhsa_kernel _Z18surfel_render_tileIfLi256EEvPKT_iS0_iiPS0_
		.amdhsa_group_segment_fixed_size 7168
		.amdhsa_private_segment_fixed_size 0
		.amdhsa_kernarg_size 288
		.amdhsa_user_sgpr_count 2
		.amdhsa_user_sgpr_dispatch_ptr 0
		.amdhsa_user_sgpr_queue_ptr 0
		.amdhsa_user_sgpr_kernarg_segment_ptr 1
		.amdhsa_user_sgpr_dispatch_id 0
		.amdhsa_user_sgpr_kernarg_preload_length 0
		.amdhsa_user_sgpr_kernarg_preload_offset 0
		.amdhsa_user_sgpr_private_segment_size 0
		.amdhsa_uses_dynamic_stack 0
		.amdhsa_enable_private_segment 0
		.amdhsa_system_sgpr_workgroup_id_x 1
		.amdhsa_system_sgpr_workgroup_id_y 1
		.amdhsa_system_sgpr_workgroup_id_z 0
		.amdhsa_system_sgpr_workgroup_info 0
		.amdhsa_system_vgpr_workitem_id 1
		.amdhsa_next_free_vgpr 52
		.amdhsa_next_free_sgpr 21
		.amdhsa_accum_offset 52
		.amdhsa_reserve_vcc 1
		.amdhsa_float_round_mode_32 0
		.amdhsa_float_round_mode_16_64 0
		.amdhsa_float_denorm_mode_32 3
		.amdhsa_float_denorm_mode_16_64 3
		.amdhsa_dx10_clamp 1
		.amdhsa_ieee_mode 1
		.amdhsa_fp16_overflow 0
		.amdhsa_tg_split 0
		.amdhsa_exception_fp_ieee_invalid_op 0
		.amdhsa_exception_fp_denorm_src 0
		.amdhsa_exception_fp_ieee_div_zero 0
		.amdhsa_exception_fp_ieee_overflow 0
		.amdhsa_exception_fp_ieee_underflow 0
		.amdhsa_exception_fp_ieee_inexact 0
		.amdhsa_exception_int_div_zero 0
	.end_amdhsa_kernel
	.section	.text._Z18surfel_render_tileIfLi256EEvPKT_iS0_iiPS0_,"axG",@progbits,_Z18surfel_render_tileIfLi256EEvPKT_iS0_iiPS0_,comdat
.Lfunc_end1:
	.size	_Z18surfel_render_tileIfLi256EEvPKT_iS0_iiPS0_, .Lfunc_end1-_Z18surfel_render_tileIfLi256EEvPKT_iS0_iiPS0_
                                        ; -- End function
	.set _Z18surfel_render_tileIfLi256EEvPKT_iS0_iiPS0_.num_vgpr, 52
	.set _Z18surfel_render_tileIfLi256EEvPKT_iS0_iiPS0_.num_agpr, 0
	.set _Z18surfel_render_tileIfLi256EEvPKT_iS0_iiPS0_.numbered_sgpr, 21
	.set _Z18surfel_render_tileIfLi256EEvPKT_iS0_iiPS0_.num_named_barrier, 0
	.set _Z18surfel_render_tileIfLi256EEvPKT_iS0_iiPS0_.private_seg_size, 0
	.set _Z18surfel_render_tileIfLi256EEvPKT_iS0_iiPS0_.uses_vcc, 1
	.set _Z18surfel_render_tileIfLi256EEvPKT_iS0_iiPS0_.uses_flat_scratch, 0
	.set _Z18surfel_render_tileIfLi256EEvPKT_iS0_iiPS0_.has_dyn_sized_stack, 0
	.set _Z18surfel_render_tileIfLi256EEvPKT_iS0_iiPS0_.has_recursion, 0
	.set _Z18surfel_render_tileIfLi256EEvPKT_iS0_iiPS0_.has_indirect_call, 0
	.section	.AMDGPU.csdata,"",@progbits
; Kernel info:
; codeLenInByte = 1552
; TotalNumSgprs: 27
; NumVgprs: 52
; NumAgprs: 0
; TotalNumVgprs: 52
; ScratchSize: 0
; MemoryBound: 0
; FloatMode: 240
; IeeeMode: 1
; LDSByteSize: 7168 bytes/workgroup (compile time only)
; SGPRBlocks: 3
; VGPRBlocks: 6
; NumSGPRsForWavesPerEU: 27
; NumVGPRsForWavesPerEU: 52
; AccumOffset: 52
; Occupancy: 8
; WaveLimiterHint : 0
; COMPUTE_PGM_RSRC2:SCRATCH_EN: 0
; COMPUTE_PGM_RSRC2:USER_SGPR: 2
; COMPUTE_PGM_RSRC2:TRAP_HANDLER: 0
; COMPUTE_PGM_RSRC2:TGID_X_EN: 1
; COMPUTE_PGM_RSRC2:TGID_Y_EN: 1
; COMPUTE_PGM_RSRC2:TGID_Z_EN: 0
; COMPUTE_PGM_RSRC2:TIDIG_COMP_CNT: 1
; COMPUTE_PGM_RSRC3_GFX90A:ACCUM_OFFSET: 12
; COMPUTE_PGM_RSRC3_GFX90A:TG_SPLIT: 0
	.section	.AMDGPU.gpr_maximums,"",@progbits
	.set amdgpu.max_num_vgpr, 0
	.set amdgpu.max_num_agpr, 0
	.set amdgpu.max_num_sgpr, 0
	.section	.AMDGPU.csdata,"",@progbits
	.type	__hip_cuid_4933c79c5f4c1ce,@object ; @__hip_cuid_4933c79c5f4c1ce
	.section	.bss,"aw",@nobits
	.globl	__hip_cuid_4933c79c5f4c1ce
__hip_cuid_4933c79c5f4c1ce:
	.byte	0                               ; 0x0
	.size	__hip_cuid_4933c79c5f4c1ce, 1

	.ident	"AMD clang version 22.0.0git (https://github.com/RadeonOpenCompute/llvm-project roc-7.2.4 26084 f58b06dce1f9c15707c5f808fd002e18c2accf7e)"
	.section	".note.GNU-stack","",@progbits
	.addrsig
	.addrsig_sym __hip_cuid_4933c79c5f4c1ce
	.amdgpu_metadata
---
amdhsa.kernels:
  - .agpr_count:     0
    .args:
      - .actual_access:  read_only
        .address_space:  global
        .offset:         0
        .size:           8
        .value_kind:     global_buffer
      - .offset:         8
        .size:           4
        .value_kind:     by_value
      - .offset:         12
        .size:           4
        .value_kind:     by_value
      - .offset:         16
        .size:           4
        .value_kind:     by_value
      - .offset:         20
        .size:           4
        .value_kind:     by_value
      - .actual_access:  write_only
        .address_space:  global
        .offset:         24
        .size:           8
        .value_kind:     global_buffer
      - .offset:         32
        .size:           4
        .value_kind:     hidden_block_count_x
      - .offset:         36
        .size:           4
        .value_kind:     hidden_block_count_y
      - .offset:         40
        .size:           4
        .value_kind:     hidden_block_count_z
      - .offset:         44
        .size:           2
        .value_kind:     hidden_group_size_x
      - .offset:         46
        .size:           2
        .value_kind:     hidden_group_size_y
      - .offset:         48
        .size:           2
        .value_kind:     hidden_group_size_z
      - .offset:         50
        .size:           2
        .value_kind:     hidden_remainder_x
      - .offset:         52
        .size:           2
        .value_kind:     hidden_remainder_y
      - .offset:         54
        .size:           2
        .value_kind:     hidden_remainder_z
      - .offset:         72
        .size:           8
        .value_kind:     hidden_global_offset_x
      - .offset:         80
        .size:           8
        .value_kind:     hidden_global_offset_y
      - .offset:         88
        .size:           8
        .value_kind:     hidden_global_offset_z
      - .offset:         96
        .size:           2
        .value_kind:     hidden_grid_dims
    .group_segment_fixed_size: 0
    .kernarg_segment_align: 8
    .kernarg_segment_size: 288
    .language:       OpenCL C
    .language_version:
      - 2
      - 0
    .max_flat_workgroup_size: 1024
    .name:           _Z13surfel_renderIfEvPKT_iS0_iiPS0_
    .private_segment_fixed_size: 0
    .sgpr_count:     22
    .sgpr_spill_count: 0
    .symbol:         _Z13surfel_renderIfEvPKT_iS0_iiPS0_.kd
    .uniform_work_group_size: 1
    .uses_dynamic_stack: false
    .vgpr_count:     14
    .vgpr_spill_count: 0
    .wavefront_size: 64
  - .agpr_count:     0
    .args:
      - .actual_access:  read_only
        .address_space:  global
        .offset:         0
        .size:           8
        .value_kind:     global_buffer
      - .offset:         8
        .size:           4
        .value_kind:     by_value
      - .offset:         12
        .size:           4
        .value_kind:     by_value
      - .offset:         16
        .size:           4
        .value_kind:     by_value
      - .offset:         20
        .size:           4
        .value_kind:     by_value
      - .actual_access:  write_only
        .address_space:  global
        .offset:         24
        .size:           8
        .value_kind:     global_buffer
      - .offset:         32
        .size:           4
        .value_kind:     hidden_block_count_x
      - .offset:         36
        .size:           4
        .value_kind:     hidden_block_count_y
      - .offset:         40
        .size:           4
        .value_kind:     hidden_block_count_z
      - .offset:         44
        .size:           2
        .value_kind:     hidden_group_size_x
      - .offset:         46
        .size:           2
        .value_kind:     hidden_group_size_y
      - .offset:         48
        .size:           2
        .value_kind:     hidden_group_size_z
      - .offset:         50
        .size:           2
        .value_kind:     hidden_remainder_x
      - .offset:         52
        .size:           2
        .value_kind:     hidden_remainder_y
      - .offset:         54
        .size:           2
        .value_kind:     hidden_remainder_z
      - .offset:         72
        .size:           8
        .value_kind:     hidden_global_offset_x
      - .offset:         80
        .size:           8
        .value_kind:     hidden_global_offset_y
      - .offset:         88
        .size:           8
        .value_kind:     hidden_global_offset_z
      - .offset:         96
        .size:           2
        .value_kind:     hidden_grid_dims
    .group_segment_fixed_size: 7168
    .kernarg_segment_align: 8
    .kernarg_segment_size: 288
    .language:       OpenCL C
    .language_version:
      - 2
      - 0
    .max_flat_workgroup_size: 1024
    .name:           _Z18surfel_render_tileIfLi256EEvPKT_iS0_iiPS0_
    .private_segment_fixed_size: 0
    .sgpr_count:     27
    .sgpr_spill_count: 0
    .symbol:         _Z18surfel_render_tileIfLi256EEvPKT_iS0_iiPS0_.kd
    .uniform_work_group_size: 1
    .uses_dynamic_stack: false
    .vgpr_count:     52
    .vgpr_spill_count: 0
    .wavefront_size: 64
amdhsa.target:   amdgcn-amd-amdhsa--gfx950
amdhsa.version:
  - 1
  - 2
...

	.end_amdgpu_metadata
